;; amdgpu-corpus repo=ROCm/rocFFT kind=compiled arch=gfx1030 opt=O3
	.text
	.amdgcn_target "amdgcn-amd-amdhsa--gfx1030"
	.amdhsa_code_object_version 6
	.protected	bluestein_single_back_len1250_dim1_sp_op_CI_CI ; -- Begin function bluestein_single_back_len1250_dim1_sp_op_CI_CI
	.globl	bluestein_single_back_len1250_dim1_sp_op_CI_CI
	.p2align	8
	.type	bluestein_single_back_len1250_dim1_sp_op_CI_CI,@function
bluestein_single_back_len1250_dim1_sp_op_CI_CI: ; @bluestein_single_back_len1250_dim1_sp_op_CI_CI
; %bb.0:
	s_load_dwordx4 s[12:15], s[4:5], 0x28
	v_mul_u32_u24_e32 v1, 0x107, v0
	v_mov_b32_e32 v53, 0
	s_mov_b32 s0, exec_lo
	v_lshrrev_b32_e32 v1, 16, v1
	v_add_nc_u32_e32 v52, s6, v1
	s_waitcnt lgkmcnt(0)
	v_cmpx_gt_u64_e64 s[12:13], v[52:53]
	s_cbranch_execz .LBB0_10
; %bb.1:
	s_clause 0x1
	s_load_dwordx4 s[8:11], s[4:5], 0x18
	s_load_dwordx4 s[0:3], s[4:5], 0x0
	v_mul_lo_u16 v1, 0xfa, v1
	s_load_dwordx2 s[4:5], s[4:5], 0x38
                                        ; implicit-def: $vgpr32
	v_sub_nc_u16 v14, v0, v1
	v_and_b32_e32 v65, 0xffff, v14
	v_lshlrev_b32_e32 v66, 3, v65
	s_waitcnt lgkmcnt(0)
	s_load_dwordx4 s[16:19], s[8:9], 0x0
	s_clause 0x1
	global_load_dwordx2 v[53:54], v66, s[0:1]
	global_load_dwordx2 v[55:56], v66, s[0:1] offset:2000
	v_add_co_u32 v45, s6, s0, v66
	v_add_co_ci_u32_e64 v44, null, s1, 0, s6
	v_add_nc_u32_e32 v15, 0xf80, v66
	s_waitcnt lgkmcnt(0)
	v_mad_u64_u32 v[0:1], null, s18, v52, 0
	v_mad_u64_u32 v[2:3], null, s16, v65, 0
	s_mul_i32 s0, s17, 0x7d0
	s_mul_hi_u32 s1, s16, 0x7d0
	s_mul_i32 s6, s16, 0x7d0
	s_add_i32 s1, s1, s0
	v_mad_u64_u32 v[4:5], null, s19, v52, v[1:2]
	v_mad_u64_u32 v[5:6], null, s17, v65, v[3:4]
	v_mov_b32_e32 v1, v4
	v_add_co_u32 v6, vcc_lo, 0x800, v45
	v_add_co_ci_u32_e32 v7, vcc_lo, 0, v44, vcc_lo
	v_add_co_u32 v8, vcc_lo, 0x1000, v45
	v_mov_b32_e32 v3, v5
	v_lshlrev_b64 v[0:1], 3, v[0:1]
	v_add_co_ci_u32_e32 v9, vcc_lo, 0, v44, vcc_lo
	v_add_co_u32 v4, vcc_lo, 0x1800, v45
	v_add_co_ci_u32_e32 v5, vcc_lo, 0, v44, vcc_lo
	v_lshlrev_b64 v[2:3], 3, v[2:3]
	v_add_co_u32 v0, vcc_lo, s14, v0
	v_add_co_ci_u32_e32 v1, vcc_lo, s15, v1, vcc_lo
	global_load_dwordx2 v[57:58], v[6:7], off offset:1952
	v_add_co_u32 v0, vcc_lo, v0, v2
	v_add_co_ci_u32_e32 v1, vcc_lo, v1, v3, vcc_lo
	v_add_co_u32 v2, vcc_lo, v0, s6
	v_add_co_ci_u32_e32 v3, vcc_lo, s1, v1, vcc_lo
	;; [unrolled: 2-line block ×3, first 2 shown]
	s_clause 0x1
	global_load_dwordx2 v[0:1], v[0:1], off
	global_load_dwordx2 v[2:3], v[2:3], off
	v_add_co_u32 v10, vcc_lo, v6, s6
	v_add_co_ci_u32_e32 v11, vcc_lo, s1, v7, vcc_lo
	global_load_dwordx2 v[6:7], v[6:7], off
	v_add_co_u32 v12, vcc_lo, v10, s6
	v_add_co_ci_u32_e32 v13, vcc_lo, s1, v11, vcc_lo
	global_load_dwordx2 v[59:60], v[8:9], off offset:1904
	global_load_dwordx2 v[8:9], v[10:11], off
	global_load_dwordx2 v[61:62], v[4:5], off offset:1856
	global_load_dwordx2 v[4:5], v[12:13], off
	s_load_dwordx4 s[8:11], s[10:11], 0x0
	v_cmp_gt_u16_e32 vcc_lo, 0x7d, v14
	s_waitcnt vmcnt(6)
	v_mul_f32_e32 v10, v1, v54
	v_mul_f32_e32 v11, v0, v54
	s_waitcnt vmcnt(5)
	v_mul_f32_e32 v12, v3, v56
	v_mul_f32_e32 v13, v2, v56
	v_fmac_f32_e32 v10, v0, v53
	s_waitcnt vmcnt(4)
	v_mul_f32_e32 v0, v7, v58
	v_fma_f32 v11, v1, v53, -v11
	v_fmac_f32_e32 v12, v2, v55
	v_fma_f32 v13, v3, v55, -v13
	v_mul_f32_e32 v1, v6, v58
	s_waitcnt vmcnt(2)
	v_mul_f32_e32 v2, v9, v60
	v_mul_f32_e32 v3, v8, v60
	v_fmac_f32_e32 v0, v6, v57
	s_waitcnt vmcnt(0)
	v_mul_f32_e32 v6, v5, v62
	v_mul_f32_e32 v16, v4, v62
	v_fma_f32 v1, v7, v57, -v1
	v_fmac_f32_e32 v2, v8, v59
	v_fma_f32 v3, v9, v59, -v3
	v_fmac_f32_e32 v6, v4, v61
	v_fma_f32 v7, v5, v61, -v16
	ds_write2_b64 v66, v[10:11], v[12:13] offset1:250
	ds_write2_b64 v15, v[0:1], v[2:3] offset0:4 offset1:254
	ds_write_b64 v66, v[6:7] offset:8000
	s_waitcnt lgkmcnt(0)
	s_barrier
	buffer_gl0_inv
	ds_read2_b64 v[0:3], v66 offset1:250
	ds_read2_b64 v[4:7], v15 offset0:4 offset1:254
	ds_read_b64 v[8:9], v66 offset:8000
	v_mov_b32_e32 v10, 3
	v_mul_lo_u16 v11, v14, 5
	s_waitcnt lgkmcnt(0)
	s_barrier
	buffer_gl0_inv
	v_lshlrev_b32_sdwa v69, v10, v11 dst_sel:DWORD dst_unused:UNUSED_PAD src0_sel:DWORD src1_sel:WORD_0
	v_add_f32_e32 v10, v0, v2
	v_add_f32_e32 v11, v4, v6
	;; [unrolled: 1-line block ×5, first 2 shown]
	v_sub_f32_e32 v12, v3, v9
	v_sub_f32_e32 v13, v5, v7
	;; [unrolled: 1-line block ×5, first 2 shown]
	v_add_f32_e32 v19, v1, v3
	v_sub_f32_e32 v2, v2, v8
	v_sub_f32_e32 v22, v4, v6
	;; [unrolled: 1-line block ×4, first 2 shown]
	v_fma_f32 v20, -0.5, v11, v0
	v_fma_f32 v26, -0.5, v16, v0
	v_fma_f32 v21, -0.5, v21, v1
	v_fma_f32 v27, -0.5, v25, v1
	v_sub_f32_e32 v15, v8, v6
	v_sub_f32_e32 v3, v5, v3
	;; [unrolled: 1-line block ×3, first 2 shown]
	v_add_f32_e32 v4, v10, v4
	v_add_f32_e32 v0, v17, v18
	;; [unrolled: 1-line block ×4, first 2 shown]
	v_fmamk_f32 v18, v12, 0x3f737871, v20
	v_fmac_f32_e32 v20, 0xbf737871, v12
	v_fmamk_f32 v24, v13, 0xbf737871, v26
	v_fmac_f32_e32 v26, 0x3f737871, v13
	v_fmamk_f32 v19, v2, 0xbf737871, v21
	v_fmac_f32_e32 v21, 0x3f737871, v2
	v_fmamk_f32 v25, v22, 0x3f737871, v27
	v_fmac_f32_e32 v27, 0xbf737871, v22
	v_add_f32_e32 v10, v14, v15
	v_add_f32_e32 v1, v3, v28
	;; [unrolled: 1-line block ×4, first 2 shown]
	v_fmac_f32_e32 v18, 0x3f167918, v13
	v_fmac_f32_e32 v20, 0xbf167918, v13
	;; [unrolled: 1-line block ×8, first 2 shown]
	v_add_f32_e32 v16, v3, v8
	v_add_f32_e32 v17, v4, v9
	v_fmac_f32_e32 v18, 0x3e9e377a, v10
	v_fmac_f32_e32 v20, 0x3e9e377a, v10
	;; [unrolled: 1-line block ×8, first 2 shown]
	ds_write2_b64 v69, v[16:17], v[18:19] offset1:1
	ds_write2_b64 v69, v[24:25], v[26:27] offset0:2 offset1:3
	ds_write_b64 v69, v[20:21] offset:32
	s_waitcnt lgkmcnt(0)
	s_barrier
	buffer_gl0_inv
                                        ; implicit-def: $vgpr28
	s_and_saveexec_b32 s0, vcc_lo
	s_cbranch_execz .LBB0_3
; %bb.2:
	v_add_nc_u32_e32 v0, 0x400, v66
	v_add_nc_u32_e32 v1, 0xc00, v66
	;; [unrolled: 1-line block ×4, first 2 shown]
	ds_read2_b64 v[16:19], v66 offset1:125
	ds_read2_b64 v[24:27], v0 offset0:122 offset1:247
	ds_read2_b64 v[20:23], v1 offset0:116 offset1:241
	ds_read2_b64 v[28:31], v2 offset0:110 offset1:235
	ds_read2_b64 v[32:35], v3 offset0:104 offset1:229
.LBB0_3:
	s_or_b32 exec_lo, exec_lo, s0
	v_and_b32_e32 v46, 0xff, v65
	v_mul_lo_u16 v0, 0xcd, v46
	v_lshrrev_b16 v68, 10, v0
	v_mul_lo_u16 v0, v68, 5
	v_sub_nc_u16 v0, v65, v0
	v_and_b32_e32 v67, 0xff, v0
	v_mad_u64_u32 v[36:37], null, 0x48, v67, s[2:3]
	s_clause 0x4
	global_load_dwordx4 v[4:7], v[36:37], off
	global_load_dwordx4 v[0:3], v[36:37], off offset:16
	global_load_dwordx4 v[12:15], v[36:37], off offset:32
	;; [unrolled: 1-line block ×3, first 2 shown]
	global_load_dwordx2 v[63:64], v[36:37], off offset:64
	s_waitcnt vmcnt(0) lgkmcnt(0)
	s_barrier
	buffer_gl0_inv
	v_mul_f32_e32 v36, v19, v5
	v_mul_f32_e32 v37, v18, v5
	;; [unrolled: 1-line block ×18, first 2 shown]
	v_fma_f32 v36, v18, v4, -v36
	v_fmac_f32_e32 v37, v19, v4
	v_fma_f32 v18, v24, v6, -v38
	v_fmac_f32_e32 v39, v25, v6
	;; [unrolled: 2-line block ×9, first 2 shown]
	v_add_f32_e32 v25, v16, v18
	v_add_f32_e32 v27, v20, v22
	;; [unrolled: 1-line block ×5, first 2 shown]
	v_sub_f32_e32 v35, v39, v43
	v_sub_f32_e32 v38, v72, v50
	v_add_f32_e32 v40, v39, v72
	v_add_f32_e32 v51, v21, v23
	;; [unrolled: 1-line block ×5, first 2 shown]
	v_sub_f32_e32 v28, v18, v20
	v_sub_f32_e32 v29, v24, v22
	;; [unrolled: 1-line block ×6, first 2 shown]
	v_add_f32_e32 v49, v36, v19
	v_sub_f32_e32 v71, v19, v21
	v_sub_f32_e32 v76, v21, v19
	;; [unrolled: 1-line block ×3, first 2 shown]
	v_add_f32_e32 v82, v37, v41
	v_sub_f32_e32 v83, v48, v41
	v_sub_f32_e32 v86, v18, v24
	;; [unrolled: 1-line block ×7, first 2 shown]
	v_fma_f32 v18, -0.5, v27, v16
	v_fmac_f32_e32 v16, -0.5, v30
	v_add_f32_e32 v30, v35, v38
	v_fma_f32 v19, -0.5, v34, v17
	v_fmac_f32_e32 v17, -0.5, v40
	v_fma_f32 v38, -0.5, v51, v36
	v_fmac_f32_e32 v36, -0.5, v75
	;; [unrolled: 2-line block ×3, first 2 shown]
	v_add_f32_e32 v20, v25, v20
	v_add_f32_e32 v25, v33, v43
	v_sub_f32_e32 v73, v26, v23
	v_sub_f32_e32 v77, v23, v26
	;; [unrolled: 1-line block ×6, first 2 shown]
	v_add_f32_e32 v28, v28, v29
	v_add_f32_e32 v29, v31, v32
	;; [unrolled: 1-line block ×6, first 2 shown]
	v_fmamk_f32 v47, v41, 0x3f737871, v38
	v_fmac_f32_e32 v38, 0xbf737871, v41
	v_fmamk_f32 v48, v88, 0xbf737871, v36
	v_fmac_f32_e32 v36, 0x3f737871, v88
	;; [unrolled: 2-line block ×4, first 2 shown]
	v_add_f32_e32 v32, v71, v73
	v_add_f32_e32 v34, v76, v77
	;; [unrolled: 1-line block ×5, first 2 shown]
	v_fmamk_f32 v20, v39, 0x3f737871, v18
	v_fmac_f32_e32 v18, 0xbf737871, v39
	v_fmamk_f32 v21, v85, 0xbf737871, v16
	v_fmac_f32_e32 v16, 0x3f737871, v85
	v_add_f32_e32 v33, v33, v23
	v_fmamk_f32 v22, v86, 0xbf737871, v19
	v_fmac_f32_e32 v19, 0x3f737871, v86
	v_fmamk_f32 v23, v87, 0x3f737871, v17
	v_fmac_f32_e32 v17, 0xbf737871, v87
	v_fmac_f32_e32 v47, 0x3f167918, v88
	;; [unrolled: 1-line block ×25, first 2 shown]
	v_add_f32_e32 v27, v27, v70
	v_fmac_f32_e32 v20, 0x3e9e377a, v28
	v_fmac_f32_e32 v18, 0x3e9e377a, v28
	;; [unrolled: 1-line block ×8, first 2 shown]
	v_mul_f32_e32 v29, 0x3f167918, v49
	v_mul_f32_e32 v28, 0x3f737871, v50
	v_mul_f32_e32 v30, 0x3e9e377a, v36
	v_mul_f32_e32 v39, 0x3f4f1bbd, v38
	v_mul_f32_e32 v31, 0xbf167918, v47
	v_mul_f32_e32 v32, 0xbf737871, v48
	v_mul_f32_e32 v41, 0x3e9e377a, v37
	v_mul_f32_e32 v42, 0x3f4f1bbd, v40
	v_add_f32_e32 v24, v43, v24
	v_add_f32_e32 v25, v25, v72
	;; [unrolled: 1-line block ×4, first 2 shown]
	v_fmac_f32_e32 v29, 0x3f4f1bbd, v47
	v_fmac_f32_e32 v28, 0x3e9e377a, v48
	v_fma_f32 v33, 0x3f737871, v37, -v30
	v_fma_f32 v30, 0x3f167918, v40, -v39
	v_fmac_f32_e32 v31, 0x3f4f1bbd, v49
	v_fmac_f32_e32 v32, 0x3e9e377a, v50
	v_fma_f32 v47, 0xbf737871, v36, -v41
	v_fma_f32 v48, 0xbf167918, v38, -v42
	v_sub_f32_e32 v34, v24, v26
	v_sub_f32_e32 v35, v25, v27
	;; [unrolled: 1-line block ×10, first 2 shown]
	s_and_saveexec_b32 s0, vcc_lo
	s_cbranch_execz .LBB0_5
; %bb.4:
	v_mov_b32_e32 v49, 50
	v_add_f32_e32 v23, v23, v32
	v_add_f32_e32 v32, v22, v31
	;; [unrolled: 1-line block ×4, first 2 shown]
	v_mul_u32_u24_sdwa v22, v68, v49 dst_sel:DWORD dst_unused:UNUSED_PAD src0_sel:WORD_0 src1_sel:DWORD
	v_add_f32_e32 v24, v24, v26
	v_add_f32_e32 v17, v17, v47
	v_add_f32_e32 v16, v16, v33
	v_add_f32_e32 v19, v19, v48
	v_add_lshl_u32 v20, v22, v67, 3
	v_add_f32_e32 v22, v21, v28
	v_add_f32_e32 v18, v18, v30
	ds_write2_b64 v20, v[24:25], v[31:32] offset1:5
	ds_write2_b64 v20, v[22:23], v[16:17] offset0:10 offset1:15
	ds_write2_b64 v20, v[18:19], v[34:35] offset0:20 offset1:25
	;; [unrolled: 1-line block ×4, first 2 shown]
.LBB0_5:
	s_or_b32 exec_lo, exec_lo, s0
	v_mul_lo_u16 v16, v46, 41
	s_waitcnt lgkmcnt(0)
	s_barrier
	buffer_gl0_inv
	v_add_nc_u32_e32 v32, 0xf80, v66
	v_lshrrev_b16 v33, 11, v16
	v_mov_b32_e32 v49, 0xfa
	v_mul_lo_u16 v16, v33, 50
	v_mul_u32_u24_sdwa v33, v33, v49 dst_sel:DWORD dst_unused:UNUSED_PAD src0_sel:WORD_0 src1_sel:DWORD
	v_lshlrev_b32_e32 v49, 5, v65
	v_sub_nc_u16 v16, v65, v16
	v_and_b32_e32 v48, 0xff, v16
	v_lshlrev_b32_e32 v16, 5, v48
	v_add_lshl_u32 v70, v33, v48, 3
	s_clause 0x1
	global_load_dwordx4 v[20:23], v16, s[2:3] offset:360
	global_load_dwordx4 v[16:19], v16, s[2:3] offset:376
	ds_read2_b64 v[24:27], v66 offset1:250
	ds_read2_b64 v[28:31], v32 offset0:4 offset1:254
	ds_read_b64 v[46:47], v66 offset:8000
	s_waitcnt vmcnt(0) lgkmcnt(0)
	s_barrier
	buffer_gl0_inv
	v_mul_f32_e32 v33, v27, v21
	v_mul_f32_e32 v48, v26, v21
	;; [unrolled: 1-line block ×8, first 2 shown]
	v_fma_f32 v26, v26, v20, -v33
	v_fmac_f32_e32 v48, v27, v20
	v_fma_f32 v27, v28, v22, -v50
	v_fmac_f32_e32 v51, v29, v22
	;; [unrolled: 2-line block ×3, first 2 shown]
	v_fmac_f32_e32 v74, v47, v18
	v_fma_f32 v33, v46, v18, -v73
	v_add_f32_e32 v29, v24, v26
	v_add_f32_e32 v30, v27, v28
	v_add_f32_e32 v77, v51, v72
	v_sub_f32_e32 v31, v26, v27
	v_sub_f32_e32 v46, v33, v28
	v_add_f32_e32 v71, v26, v33
	v_add_f32_e32 v76, v25, v48
	;; [unrolled: 1-line block ×3, first 2 shown]
	v_sub_f32_e32 v47, v48, v74
	v_sub_f32_e32 v73, v27, v26
	;; [unrolled: 1-line block ×4, first 2 shown]
	v_add_f32_e32 v29, v29, v27
	v_fma_f32 v26, -0.5, v30, v24
	v_fma_f32 v27, -0.5, v77, v25
	v_sub_f32_e32 v50, v51, v72
	v_add_f32_e32 v84, v31, v46
	v_fma_f32 v24, -0.5, v71, v24
	v_add_f32_e32 v31, v76, v51
	v_fma_f32 v25, -0.5, v82, v25
	v_sub_f32_e32 v75, v28, v33
	v_sub_f32_e32 v80, v48, v51
	;; [unrolled: 1-line block ×3, first 2 shown]
	v_add_f32_e32 v46, v29, v28
	v_fmamk_f32 v28, v47, 0x3f737871, v26
	v_fmamk_f32 v29, v78, 0xbf737871, v27
	v_sub_f32_e32 v48, v51, v48
	v_sub_f32_e32 v83, v72, v74
	v_fmamk_f32 v30, v50, 0xbf737871, v24
	v_fmac_f32_e32 v24, 0x3f737871, v50
	v_add_f32_e32 v72, v31, v72
	v_fmamk_f32 v31, v79, 0x3f737871, v25
	v_fmac_f32_e32 v25, 0xbf737871, v79
	v_fmac_f32_e32 v26, 0xbf737871, v47
	;; [unrolled: 1-line block ×3, first 2 shown]
	v_add_f32_e32 v51, v80, v81
	v_fmac_f32_e32 v28, 0x3f167918, v50
	v_fmac_f32_e32 v29, 0xbf167918, v79
	v_add_f32_e32 v71, v73, v75
	v_add_f32_e32 v48, v48, v83
	v_fmac_f32_e32 v30, 0x3f167918, v47
	v_fmac_f32_e32 v24, 0xbf167918, v47
	;; [unrolled: 1-line block ×6, first 2 shown]
	v_add_f32_e32 v46, v46, v33
	v_add_f32_e32 v47, v72, v74
	v_fmac_f32_e32 v28, 0x3e9e377a, v84
	v_fmac_f32_e32 v29, 0x3e9e377a, v51
	;; [unrolled: 1-line block ×8, first 2 shown]
	ds_write2_b64 v70, v[46:47], v[28:29] offset1:50
	ds_write2_b64 v70, v[30:31], v[24:25] offset0:100 offset1:150
	ds_write_b64 v70, v[26:27] offset:1600
	s_waitcnt lgkmcnt(0)
	s_barrier
	buffer_gl0_inv
	s_clause 0x1
	global_load_dwordx4 v[28:31], v49, s[2:3] offset:1960
	global_load_dwordx4 v[24:27], v49, s[2:3] offset:1976
	ds_read2_b64 v[46:49], v66 offset1:250
	ds_read2_b64 v[71:74], v32 offset0:4 offset1:254
	ds_read_b64 v[50:51], v66 offset:8000
	v_add_co_u32 v75, s0, 0x2710, v45
	v_add_co_u32 v77, s1, 0x2000, v45
	v_add_co_ci_u32_e64 v76, s0, 0, v44, s0
	s_waitcnt vmcnt(1) lgkmcnt(2)
	v_mul_f32_e32 v33, v49, v29
	v_mul_f32_e32 v78, v48, v29
	s_waitcnt lgkmcnt(1)
	v_mul_f32_e32 v79, v72, v31
	v_mul_f32_e32 v80, v71, v31
	s_waitcnt vmcnt(0)
	v_mul_f32_e32 v81, v74, v25
	v_mul_f32_e32 v82, v73, v25
	s_waitcnt lgkmcnt(0)
	v_mul_f32_e32 v83, v51, v27
	v_mul_f32_e32 v84, v50, v27
	v_fma_f32 v33, v48, v28, -v33
	v_fmac_f32_e32 v78, v49, v28
	v_fma_f32 v48, v71, v30, -v79
	v_fmac_f32_e32 v80, v72, v30
	;; [unrolled: 2-line block ×3, first 2 shown]
	v_fmac_f32_e32 v82, v74, v24
	v_fma_f32 v73, v50, v26, -v83
	v_add_f32_e32 v49, v46, v33
	v_add_f32_e32 v50, v48, v71
	v_sub_f32_e32 v51, v33, v48
	v_add_f32_e32 v86, v47, v78
	v_sub_f32_e32 v72, v73, v71
	v_add_f32_e32 v87, v80, v82
	v_add_f32_e32 v91, v78, v84
	;; [unrolled: 1-line block ×3, first 2 shown]
	v_sub_f32_e32 v74, v78, v84
	v_sub_f32_e32 v83, v48, v33
	;; [unrolled: 1-line block ×4, first 2 shown]
	v_add_f32_e32 v93, v49, v48
	v_fma_f32 v48, -0.5, v50, v46
	v_add_f32_e32 v94, v51, v72
	v_add_f32_e32 v51, v86, v80
	v_fma_f32 v49, -0.5, v87, v47
	v_fma_f32 v47, -0.5, v91, v47
	v_sub_f32_e32 v79, v80, v82
	v_sub_f32_e32 v85, v71, v73
	v_fma_f32 v46, -0.5, v81, v46
	v_sub_f32_e32 v89, v78, v80
	v_sub_f32_e32 v90, v84, v82
	;; [unrolled: 1-line block ×4, first 2 shown]
	v_fmamk_f32 v50, v74, 0x3f737871, v48
	v_add_f32_e32 v82, v51, v82
	v_fmamk_f32 v51, v33, 0xbf737871, v49
	v_fmamk_f32 v72, v88, 0x3f737871, v47
	v_fmac_f32_e32 v47, 0xbf737871, v88
	v_add_f32_e32 v81, v83, v85
	v_add_f32_e32 v83, v93, v71
	v_fmamk_f32 v71, v79, 0xbf737871, v46
	v_fmac_f32_e32 v46, 0x3f737871, v79
	v_fmac_f32_e32 v48, 0xbf737871, v74
	;; [unrolled: 1-line block ×3, first 2 shown]
	v_add_f32_e32 v80, v89, v90
	v_add_f32_e32 v78, v78, v92
	v_fmac_f32_e32 v50, 0x3f167918, v79
	v_fmac_f32_e32 v51, 0xbf167918, v88
	;; [unrolled: 1-line block ×8, first 2 shown]
	v_add_f32_e32 v73, v83, v73
	v_add_f32_e32 v74, v82, v84
	v_fmac_f32_e32 v50, 0x3e9e377a, v94
	v_fmac_f32_e32 v51, 0x3e9e377a, v80
	;; [unrolled: 1-line block ×4, first 2 shown]
	v_add_co_ci_u32_e64 v78, s0, 0, v44, s1
	v_fmac_f32_e32 v71, 0x3e9e377a, v81
	v_fmac_f32_e32 v46, 0x3e9e377a, v81
	;; [unrolled: 1-line block ×4, first 2 shown]
	ds_write2_b64 v66, v[73:74], v[50:51] offset1:250
	ds_write2_b64 v32, v[71:72], v[46:47] offset0:4 offset1:254
	ds_write_b64 v66, v[48:49] offset:8000
	s_waitcnt lgkmcnt(0)
	s_barrier
	buffer_gl0_inv
	s_clause 0x1
	global_load_dwordx2 v[48:49], v[77:78], off offset:1808
	global_load_dwordx2 v[50:51], v[75:76], off offset:2000
	v_add_co_u32 v46, s0, 0x3000, v45
	v_add_co_u32 v71, s1, 0x3800, v45
	;; [unrolled: 1-line block ×3, first 2 shown]
	v_add_co_ci_u32_e64 v47, s0, 0, v44, s0
	v_add_co_ci_u32_e64 v72, s0, 0, v44, s1
	;; [unrolled: 1-line block ×3, first 2 shown]
	s_clause 0x2
	global_load_dwordx2 v[75:76], v[46:47], off offset:1712
	global_load_dwordx2 v[71:72], v[71:72], off offset:1664
	;; [unrolled: 1-line block ×3, first 2 shown]
	ds_read2_b64 v[44:47], v66 offset1:250
	s_waitcnt vmcnt(4) lgkmcnt(0)
	v_mul_f32_e32 v33, v45, v49
	v_mul_f32_e32 v78, v44, v49
	s_waitcnt vmcnt(3)
	v_mul_f32_e32 v79, v47, v51
	v_mul_f32_e32 v49, v46, v51
	v_fma_f32 v77, v44, v48, -v33
	v_fmac_f32_e32 v78, v45, v48
	v_fma_f32 v48, v46, v50, -v79
	v_fmac_f32_e32 v49, v47, v50
	ds_write2_b64 v66, v[77:78], v[48:49] offset1:250
	ds_read2_b64 v[44:47], v32 offset0:4 offset1:254
	ds_read_b64 v[48:49], v66 offset:8000
	s_waitcnt vmcnt(2) lgkmcnt(1)
	v_mul_f32_e32 v33, v45, v76
	v_mul_f32_e32 v51, v44, v76
	s_waitcnt vmcnt(1)
	v_mul_f32_e32 v77, v47, v72
	v_mul_f32_e32 v76, v46, v72
	s_waitcnt vmcnt(0) lgkmcnt(0)
	v_mul_f32_e32 v78, v49, v74
	v_mul_f32_e32 v72, v48, v74
	v_fma_f32 v50, v44, v75, -v33
	v_fmac_f32_e32 v51, v45, v75
	v_fma_f32 v75, v46, v71, -v77
	v_fmac_f32_e32 v76, v47, v71
	;; [unrolled: 2-line block ×3, first 2 shown]
	ds_write2_b64 v32, v[50:51], v[75:76] offset0:4 offset1:254
	ds_write_b64 v66, v[71:72] offset:8000
	s_waitcnt lgkmcnt(0)
	s_barrier
	buffer_gl0_inv
	ds_read2_b64 v[44:47], v66 offset1:250
	ds_read2_b64 v[71:74], v32 offset0:4 offset1:254
	ds_read_b64 v[75:76], v66 offset:8000
	s_waitcnt lgkmcnt(0)
	s_barrier
	buffer_gl0_inv
	v_add_f32_e32 v32, v44, v46
	v_add_f32_e32 v33, v71, v73
	;; [unrolled: 1-line block ×3, first 2 shown]
	v_sub_f32_e32 v51, v71, v46
	v_sub_f32_e32 v79, v73, v75
	v_add_f32_e32 v81, v72, v74
	v_add_f32_e32 v85, v47, v76
	v_sub_f32_e32 v77, v47, v76
	v_sub_f32_e32 v78, v72, v74
	;; [unrolled: 1-line block ×4, first 2 shown]
	v_add_f32_e32 v80, v45, v47
	v_sub_f32_e32 v82, v46, v75
	v_sub_f32_e32 v83, v71, v73
	;; [unrolled: 1-line block ×6, first 2 shown]
	v_add_f32_e32 v71, v32, v71
	v_fma_f32 v32, -0.5, v33, v44
	v_fma_f32 v50, -0.5, v50, v44
	v_add_f32_e32 v79, v51, v79
	v_fma_f32 v33, -0.5, v81, v45
	v_fma_f32 v51, -0.5, v85, v45
	v_add_f32_e32 v87, v48, v49
	v_add_f32_e32 v44, v80, v72
	;; [unrolled: 1-line block ×4, first 2 shown]
	v_fmamk_f32 v46, v77, 0xbf737871, v32
	v_fmac_f32_e32 v32, 0x3f737871, v77
	v_fmamk_f32 v48, v78, 0x3f737871, v50
	v_fmac_f32_e32 v50, 0xbf737871, v78
	;; [unrolled: 2-line block ×4, first 2 shown]
	v_add_f32_e32 v45, v71, v73
	v_add_f32_e32 v71, v44, v74
	v_fmac_f32_e32 v46, 0xbf167918, v78
	v_fmac_f32_e32 v32, 0x3f167918, v78
	;; [unrolled: 1-line block ×8, first 2 shown]
	v_add_f32_e32 v44, v45, v75
	v_add_f32_e32 v45, v71, v76
	v_fmac_f32_e32 v46, 0x3e9e377a, v87
	v_fmac_f32_e32 v32, 0x3e9e377a, v87
	;; [unrolled: 1-line block ×8, first 2 shown]
	ds_write2_b64 v69, v[44:45], v[46:47] offset1:1
	ds_write2_b64 v69, v[48:49], v[50:51] offset0:2 offset1:3
	ds_write_b64 v69, v[32:33] offset:32
	s_waitcnt lgkmcnt(0)
	s_barrier
	buffer_gl0_inv
	s_and_saveexec_b32 s0, vcc_lo
	s_cbranch_execz .LBB0_7
; %bb.6:
	v_add_nc_u32_e32 v32, 0x400, v66
	v_add_nc_u32_e32 v33, 0xc00, v66
	;; [unrolled: 1-line block ×4, first 2 shown]
	ds_read2_b64 v[44:47], v66 offset1:125
	ds_read2_b64 v[48:51], v32 offset0:122 offset1:247
	ds_read2_b64 v[32:35], v33 offset0:116 offset1:241
	;; [unrolled: 1-line block ×4, first 2 shown]
.LBB0_7:
	s_or_b32 exec_lo, exec_lo, s0
	s_waitcnt lgkmcnt(0)
	s_barrier
	buffer_gl0_inv
	s_and_saveexec_b32 s0, vcc_lo
	s_cbranch_execz .LBB0_9
; %bb.8:
	v_mul_f32_e32 v71, v15, v40
	v_mul_f32_e32 v15, v15, v41
	;; [unrolled: 1-line block ×5, first 2 shown]
	v_fma_f32 v71, v14, v41, -v71
	v_fmac_f32_e32 v15, v14, v40
	v_mul_f32_e32 v14, v9, v43
	v_mul_f32_e32 v9, v9, v42
	;; [unrolled: 1-line block ×3, first 2 shown]
	v_fma_f32 v69, v2, v33, -v69
	v_mul_f32_e32 v11, v11, v37
	v_fmac_f32_e32 v74, v6, v48
	v_mul_f32_e32 v33, v3, v33
	v_mul_f32_e32 v41, v1, v51
	;; [unrolled: 1-line block ×4, first 2 shown]
	v_fmac_f32_e32 v14, v8, v42
	v_fma_f32 v8, v8, v43, -v9
	v_mul_f32_e32 v1, v1, v50
	v_mul_f32_e32 v9, v64, v38
	v_fma_f32 v7, v6, v49, -v72
	v_add_f32_e32 v49, v69, v71
	v_fmac_f32_e32 v11, v10, v36
	v_fmac_f32_e32 v33, v2, v32
	v_mul_f32_e32 v2, v64, v39
	v_fmac_f32_e32 v41, v0, v50
	v_fmac_f32_e32 v48, v12, v34
	v_mul_f32_e32 v32, v5, v47
	v_fma_f32 v12, v12, v35, -v13
	v_mul_f32_e32 v5, v5, v46
	v_fma_f32 v0, v0, v51, -v1
	v_fma_f32 v9, v63, v39, -v9
	;; [unrolled: 1-line block ×3, first 2 shown]
	v_fma_f32 v36, -0.5, v49, v45
	v_sub_f32_e32 v3, v74, v11
	v_fmac_f32_e32 v2, v63, v38
	v_fmac_f32_e32 v32, v4, v46
	v_fma_f32 v4, v4, v47, -v5
	v_add_f32_e32 v5, v12, v8
	v_sub_f32_e32 v38, v0, v12
	v_sub_f32_e32 v39, v9, v8
	;; [unrolled: 1-line block ×4, first 2 shown]
	v_add_f32_e32 v13, v48, v14
	v_fma_f32 v34, -0.5, v5, v4
	v_sub_f32_e32 v5, v41, v2
	v_add_f32_e32 v38, v38, v39
	v_fmamk_f32 v39, v3, 0xbf737871, v36
	v_sub_f32_e32 v49, v33, v15
	v_fmac_f32_e32 v36, 0x3f737871, v3
	v_fma_f32 v13, -0.5, v13, v32
	v_sub_f32_e32 v35, v0, v9
	v_fmamk_f32 v40, v5, 0xbf737871, v34
	v_sub_f32_e32 v42, v48, v14
	v_add_f32_e32 v6, v6, v10
	v_fmac_f32_e32 v39, 0xbf167918, v49
	v_add_f32_e32 v51, v0, v9
	v_sub_f32_e32 v75, v12, v0
	v_fmac_f32_e32 v34, 0x3f737871, v5
	v_fmac_f32_e32 v36, 0x3f167918, v49
	v_add_f32_e32 v0, v4, v0
	v_sub_f32_e32 v1, v41, v48
	v_sub_f32_e32 v43, v2, v14
	v_fmamk_f32 v46, v35, 0x3f737871, v13
	v_sub_f32_e32 v47, v12, v8
	v_fmac_f32_e32 v40, 0xbf167918, v42
	v_fmac_f32_e32 v39, 0x3e9e377a, v6
	;; [unrolled: 1-line block ×5, first 2 shown]
	v_add_f32_e32 v6, v45, v7
	v_add_f32_e32 v0, v0, v12
	;; [unrolled: 1-line block ×3, first 2 shown]
	v_fmac_f32_e32 v46, 0x3f167918, v47
	v_fmac_f32_e32 v40, 0x3e9e377a, v38
	v_add_f32_e32 v50, v7, v37
	v_add_f32_e32 v64, v41, v2
	v_sub_f32_e32 v76, v8, v9
	v_fmac_f32_e32 v13, 0xbf167918, v47
	v_fmac_f32_e32 v34, 0x3e9e377a, v38
	v_add_f32_e32 v38, v33, v15
	v_add_f32_e32 v6, v6, v69
	v_add_f32_e32 v0, v0, v8
	v_add_f32_e32 v8, v74, v11
	v_fma_f32 v51, -0.5, v51, v4
	v_fmac_f32_e32 v46, 0x3e9e377a, v43
	v_fma_f32 v50, -0.5, v50, v45
	v_fma_f32 v64, -0.5, v64, v32
	v_fmac_f32_e32 v13, 0x3e9e377a, v43
	v_fma_f32 v38, -0.5, v38, v44
	v_sub_f32_e32 v4, v7, v37
	v_sub_f32_e32 v43, v69, v71
	v_add_f32_e32 v6, v6, v71
	v_fma_f32 v45, -0.5, v8, v44
	v_fmamk_f32 v77, v42, 0x3f737871, v51
	v_fmac_f32_e32 v51, 0xbf737871, v42
	v_sub_f32_e32 v63, v69, v7
	v_sub_f32_e32 v72, v71, v37
	v_fmamk_f32 v79, v47, 0xbf737871, v64
	v_fmac_f32_e32 v64, 0x3f737871, v47
	v_sub_f32_e32 v7, v74, v33
	v_sub_f32_e32 v12, v11, v15
	v_fmamk_f32 v42, v4, 0x3f737871, v38
	v_add_f32_e32 v6, v6, v37
	v_add_f32_e32 v37, v0, v9
	v_sub_f32_e32 v0, v33, v74
	v_sub_f32_e32 v8, v15, v11
	v_fmamk_f32 v47, v43, 0xbf737871, v45
	v_fmac_f32_e32 v45, 0x3f737871, v43
	v_add_f32_e32 v44, v44, v74
	v_add_f32_e32 v32, v32, v41
	v_fmac_f32_e32 v38, 0xbf737871, v4
	v_sub_f32_e32 v73, v48, v41
	v_sub_f32_e32 v78, v14, v2
	v_add_f32_e32 v75, v75, v76
	v_fmac_f32_e32 v77, 0xbf167918, v5
	v_fmac_f32_e32 v51, 0x3f167918, v5
	v_mul_f32_e32 v10, 0xbf4f1bbd, v40
	v_add_f32_e32 v12, v7, v12
	v_fmac_f32_e32 v42, 0x3f167918, v43
	v_add_f32_e32 v8, v0, v8
	v_fmac_f32_e32 v47, 0x3f167918, v4
	v_fmac_f32_e32 v45, 0xbf167918, v4
	v_add_f32_e32 v33, v44, v33
	v_add_f32_e32 v32, v32, v48
	v_fmac_f32_e32 v38, 0xbf167918, v43
	v_fmamk_f32 v80, v49, 0x3f737871, v50
	v_add_f32_e32 v73, v73, v78
	v_fmac_f32_e32 v79, 0x3f167918, v35
	v_fmac_f32_e32 v77, 0x3e9e377a, v75
	;; [unrolled: 1-line block ×6, first 2 shown]
	v_mul_f32_e32 v35, 0x3f4f1bbd, v34
	v_fmac_f32_e32 v42, 0x3e9e377a, v12
	v_fmac_f32_e32 v47, 0x3e9e377a, v8
	;; [unrolled: 1-line block ×3, first 2 shown]
	v_add_f32_e32 v4, v33, v15
	v_add_f32_e32 v8, v32, v14
	v_mul_f32_e32 v43, 0xbf167918, v34
	v_fmac_f32_e32 v38, 0x3e9e377a, v12
	v_mov_b32_e32 v12, 50
	v_add_f32_e32 v63, v63, v72
	v_fmac_f32_e32 v80, 0xbf167918, v3
	v_fmac_f32_e32 v79, 0x3e9e377a, v73
	v_mul_f32_e32 v72, 0xbe9e377a, v77
	v_fmac_f32_e32 v50, 0x3f167918, v3
	v_fmac_f32_e32 v64, 0x3e9e377a, v73
	v_mul_f32_e32 v73, 0x3e9e377a, v51
	v_mul_f32_e32 v41, 0xbf737871, v77
	;; [unrolled: 1-line block ×4, first 2 shown]
	v_sub_f32_e32 v1, v39, v10
	v_fmac_f32_e32 v35, 0x3f167918, v13
	v_add_f32_e32 v14, v4, v11
	v_add_f32_e32 v2, v8, v2
	v_fmac_f32_e32 v43, 0x3f4f1bbd, v13
	v_add_f32_e32 v11, v39, v10
	v_mul_u32_u24_sdwa v10, v68, v12 dst_sel:DWORD dst_unused:UNUSED_PAD src0_sel:WORD_0 src1_sel:DWORD
	v_fmac_f32_e32 v80, 0x3e9e377a, v63
	v_fmac_f32_e32 v72, 0x3f737871, v79
	v_fmac_f32_e32 v50, 0x3e9e377a, v63
	v_fmac_f32_e32 v73, 0x3f737871, v64
	v_fmac_f32_e32 v44, 0x3e9e377a, v64
	v_fmac_f32_e32 v41, 0xbe9e377a, v79
	v_fmac_f32_e32 v40, 0xbf4f1bbd, v46
	v_sub_f32_e32 v7, v36, v35
	v_add_f32_e32 v33, v36, v35
	v_add_f32_e32 v35, v6, v37
	v_add_f32_e32 v32, v38, v43
	v_add_f32_e32 v34, v14, v2
	v_add_lshl_u32 v36, v10, v67, 3
	v_sub_f32_e32 v8, v14, v2
	v_add_f32_e32 v13, v80, v72
	v_add_f32_e32 v15, v50, v73
	;; [unrolled: 1-line block ×4, first 2 shown]
	v_sub_f32_e32 v9, v6, v37
	v_add_f32_e32 v10, v42, v40
	v_sub_f32_e32 v5, v50, v73
	v_sub_f32_e32 v4, v45, v44
	;; [unrolled: 1-line block ×6, first 2 shown]
	ds_write2_b64 v36, v[34:35], v[32:33] offset1:5
	ds_write2_b64 v36, v[14:15], v[12:13] offset0:10 offset1:15
	ds_write2_b64 v36, v[10:11], v[8:9] offset0:20 offset1:25
	;; [unrolled: 1-line block ×4, first 2 shown]
.LBB0_9:
	s_or_b32 exec_lo, exec_lo, s0
	s_waitcnt lgkmcnt(0)
	s_barrier
	buffer_gl0_inv
	ds_read2_b64 v[0:3], v66 offset1:250
	v_add_nc_u32_e32 v10, 0xf80, v66
	ds_read_b64 v[8:9], v66 offset:8000
	ds_read2_b64 v[4:7], v10 offset0:4 offset1:254
	s_waitcnt lgkmcnt(0)
	s_barrier
	buffer_gl0_inv
	s_mov_b32 s0, 0xeb1c432d
	s_mov_b32 s1, 0x3f4a36e2
	v_mul_f32_e32 v11, v21, v3
	v_mul_f32_e32 v12, v21, v2
	v_mul_f32_e32 v13, v19, v9
	v_mul_f32_e32 v14, v19, v8
	v_fmac_f32_e32 v11, v20, v2
	v_fma_f32 v12, v20, v3, -v12
	v_mul_f32_e32 v3, v23, v5
	v_mul_f32_e32 v2, v23, v4
	;; [unrolled: 1-line block ×4, first 2 shown]
	v_fmac_f32_e32 v13, v18, v8
	v_fma_f32 v9, v18, v9, -v14
	v_fmac_f32_e32 v3, v22, v4
	v_fma_f32 v14, v22, v5, -v2
	v_fmac_f32_e32 v15, v16, v6
	v_add_f32_e32 v2, v0, v11
	v_fma_f32 v16, v16, v7, -v17
	v_add_f32_e32 v4, v11, v13
	v_add_f32_e32 v5, v1, v12
	;; [unrolled: 1-line block ×4, first 2 shown]
	v_sub_f32_e32 v19, v14, v16
	v_fma_f32 v2, -0.5, v4, v0
	v_add_f32_e32 v23, v5, v14
	v_add_f32_e32 v5, v14, v16
	;; [unrolled: 1-line block ×3, first 2 shown]
	v_fma_f32 v4, -0.5, v8, v0
	v_add_f32_e32 v8, v6, v15
	v_sub_f32_e32 v7, v12, v9
	v_sub_f32_e32 v17, v11, v13
	v_sub_f32_e32 v20, v11, v3
	v_sub_f32_e32 v11, v3, v11
	v_sub_f32_e32 v22, v15, v13
	v_fmamk_f32 v0, v19, 0x3f737871, v2
	v_fmac_f32_e32 v2, 0xbf737871, v19
	v_fma_f32 v5, -0.5, v5, v1
	v_sub_f32_e32 v21, v13, v15
	v_add_f32_e32 v8, v8, v13
	v_sub_f32_e32 v13, v3, v15
	v_fma_f32 v3, -0.5, v18, v1
	v_add_f32_e32 v11, v11, v22
	v_fmamk_f32 v6, v7, 0xbf737871, v4
	v_fmac_f32_e32 v4, 0x3f737871, v7
	v_fmac_f32_e32 v0, 0xbf167918, v7
	v_fmac_f32_e32 v2, 0x3f167918, v7
	v_fmamk_f32 v7, v17, 0x3f737871, v5
	v_sub_f32_e32 v15, v12, v14
	v_sub_f32_e32 v18, v9, v16
	v_fmamk_f32 v1, v13, 0xbf737871, v3
	v_sub_f32_e32 v12, v14, v12
	v_sub_f32_e32 v14, v16, v9
	v_fmac_f32_e32 v3, 0x3f737871, v13
	v_fmac_f32_e32 v5, 0xbf737871, v17
	v_add_f32_e32 v20, v20, v21
	v_fmac_f32_e32 v6, 0xbf167918, v19
	v_fmac_f32_e32 v0, 0x3e9e377a, v11
	;; [unrolled: 1-line block ×3, first 2 shown]
	v_add_f32_e32 v11, v23, v16
	v_fmac_f32_e32 v7, 0x3f167918, v13
	v_add_f32_e32 v15, v15, v18
	v_fmac_f32_e32 v1, 0x3f167918, v17
	;; [unrolled: 2-line block ×3, first 2 shown]
	v_fmac_f32_e32 v4, 0x3f167918, v19
	v_fmac_f32_e32 v5, 0xbf167918, v13
	;; [unrolled: 1-line block ×3, first 2 shown]
	v_add_f32_e32 v9, v11, v9
	v_fmac_f32_e32 v7, 0x3e9e377a, v15
	v_fmac_f32_e32 v1, 0x3e9e377a, v12
	;; [unrolled: 1-line block ×5, first 2 shown]
	ds_write2_b64 v70, v[8:9], v[6:7] offset1:50
	ds_write2_b64 v70, v[0:1], v[2:3] offset0:100 offset1:150
	ds_write_b64 v70, v[4:5] offset:1600
	s_waitcnt lgkmcnt(0)
	s_barrier
	buffer_gl0_inv
	ds_read2_b64 v[0:3], v10 offset0:4 offset1:254
	ds_read2_b64 v[4:7], v66 offset1:250
	ds_read_b64 v[8:9], v66 offset:8000
	s_waitcnt lgkmcnt(2)
	v_mul_f32_e32 v11, v31, v1
	v_mul_f32_e32 v12, v25, v3
	s_waitcnt lgkmcnt(1)
	v_mul_f32_e32 v14, v29, v6
	v_mul_f32_e32 v13, v29, v7
	s_waitcnt lgkmcnt(0)
	v_mul_f32_e32 v15, v27, v8
	v_fmac_f32_e32 v11, v30, v0
	v_mul_f32_e32 v0, v31, v0
	v_fmac_f32_e32 v12, v24, v2
	v_fma_f32 v14, v28, v7, -v14
	v_mul_f32_e32 v7, v27, v9
	v_fmac_f32_e32 v13, v28, v6
	v_fma_f32 v16, v30, v1, -v0
	v_add_f32_e32 v0, v11, v12
	v_fma_f32 v15, v26, v9, -v15
	v_mul_f32_e32 v1, v25, v2
	v_fmac_f32_e32 v7, v26, v8
	v_add_f32_e32 v2, v4, v13
	v_fma_f32 v0, -0.5, v0, v4
	v_sub_f32_e32 v9, v14, v15
	v_fma_f32 v17, v24, v3, -v1
	v_add_f32_e32 v3, v13, v7
	v_add_f32_e32 v1, v2, v11
	v_sub_f32_e32 v6, v13, v11
	v_fmamk_f32 v2, v9, 0xbf737871, v0
	v_sub_f32_e32 v18, v16, v17
	v_sub_f32_e32 v8, v7, v12
	v_fmac_f32_e32 v0, 0x3f737871, v9
	v_fma_f32 v4, -0.5, v3, v4
	v_add_f32_e32 v1, v1, v12
	v_fmac_f32_e32 v2, 0xbf167918, v18
	v_add_f32_e32 v3, v6, v8
	v_fmac_f32_e32 v0, 0x3f167918, v18
	v_fmamk_f32 v6, v18, 0x3f737871, v4
	v_fmac_f32_e32 v4, 0xbf737871, v18
	v_add_f32_e32 v18, v5, v14
	v_add_f32_e32 v8, v1, v7
	;; [unrolled: 1-line block ×3, first 2 shown]
	v_fmac_f32_e32 v2, 0x3e9e377a, v3
	v_fmac_f32_e32 v0, 0x3e9e377a, v3
	;; [unrolled: 1-line block ×3, first 2 shown]
	v_sub_f32_e32 v3, v11, v13
	v_sub_f32_e32 v19, v12, v7
	v_fmac_f32_e32 v4, 0x3f167918, v9
	v_add_f32_e32 v9, v18, v16
	v_add_f32_e32 v18, v14, v15
	v_fma_f32 v1, -0.5, v1, v5
	v_sub_f32_e32 v13, v13, v7
	v_add_f32_e32 v7, v3, v19
	v_sub_f32_e32 v11, v11, v12
	v_fma_f32 v5, -0.5, v18, v5
	v_sub_f32_e32 v12, v14, v16
	v_fmamk_f32 v3, v13, 0x3f737871, v1
	v_sub_f32_e32 v18, v15, v17
	v_fmac_f32_e32 v6, 0x3e9e377a, v7
	v_fmac_f32_e32 v4, 0x3e9e377a, v7
	v_fmamk_f32 v7, v11, 0xbf737871, v5
	v_sub_f32_e32 v14, v16, v14
	v_sub_f32_e32 v16, v17, v15
	v_fmac_f32_e32 v5, 0x3f737871, v11
	v_fmac_f32_e32 v1, 0xbf737871, v13
	v_add_f32_e32 v9, v9, v17
	v_fmac_f32_e32 v3, 0x3f167918, v11
	v_add_f32_e32 v12, v12, v18
	;; [unrolled: 2-line block ×3, first 2 shown]
	v_fmac_f32_e32 v5, 0xbf167918, v13
	v_fmac_f32_e32 v1, 0xbf167918, v11
	v_add_f32_e32 v9, v9, v15
	v_fmac_f32_e32 v3, 0x3e9e377a, v12
	v_fmac_f32_e32 v7, 0x3e9e377a, v14
	;; [unrolled: 1-line block ×4, first 2 shown]
	ds_write2_b64 v66, v[8:9], v[2:3] offset1:250
	ds_write2_b64 v10, v[6:7], v[4:5] offset0:4 offset1:254
	ds_write_b64 v66, v[0:1] offset:8000
	s_waitcnt lgkmcnt(0)
	s_barrier
	buffer_gl0_inv
	ds_read2_b64 v[0:3], v66 offset1:250
	s_waitcnt lgkmcnt(0)
	v_mul_f32_e32 v4, v54, v1
	v_mul_f32_e32 v13, v54, v0
	;; [unrolled: 1-line block ×4, first 2 shown]
	v_fmac_f32_e32 v4, v53, v0
	v_fma_f32 v1, v53, v1, -v13
	v_fma_f32 v3, v55, v3, -v16
	v_fmac_f32_e32 v15, v55, v2
	v_cvt_f64_f32_e32 v[8:9], v4
	ds_read2_b64 v[4:7], v10 offset0:4 offset1:254
	v_mad_u64_u32 v[10:11], null, s10, v52, 0
	v_cvt_f64_f32_e32 v[17:18], v3
	v_cvt_f64_f32_e32 v[13:14], v1
	;; [unrolled: 1-line block ×3, first 2 shown]
	v_mad_u64_u32 v[1:2], null, s8, v65, 0
	v_mov_b32_e32 v0, v11
	ds_read_b64 v[11:12], v66 offset:8000
	s_waitcnt lgkmcnt(1)
	v_mul_f32_e32 v19, v58, v5
	v_mul_f32_e32 v3, v58, v4
	;; [unrolled: 1-line block ×3, first 2 shown]
	v_mul_f64 v[8:9], v[8:9], s[0:1]
	v_fmac_f32_e32 v19, v57, v4
	v_mul_f32_e32 v4, v60, v6
	v_fma_f32 v3, v57, v5, -v3
	v_fmac_f32_e32 v21, v59, v6
	s_waitcnt lgkmcnt(0)
	v_mul_f32_e32 v23, v62, v12
	v_mul_f32_e32 v22, v62, v11
	v_fma_f32 v7, v59, v7, -v4
	v_cvt_f64_f32_e32 v[19:20], v19
	v_cvt_f64_f32_e32 v[3:4], v3
	v_fmac_f32_e32 v23, v61, v11
	v_fma_f32 v11, v61, v12, -v22
	v_cvt_f64_f32_e32 v[5:6], v21
	v_cvt_f64_f32_e32 v[21:22], v7
	v_cvt_f64_f32_e32 v[23:24], v23
	v_cvt_f64_f32_e32 v[25:26], v11
	v_mad_u64_u32 v[11:12], null, s11, v52, v[0:1]
	v_mov_b32_e32 v0, v2
	v_mul_f64 v[12:13], v[13:14], s[0:1]
	v_mul_f64 v[14:15], v[15:16], s[0:1]
	v_mad_u64_u32 v[27:28], null, s9, v65, v[0:1]
	v_cvt_f32_f64_e32 v0, v[8:9]
	v_mul_f64 v[7:8], v[17:18], s[0:1]
	v_lshlrev_b64 v[9:10], 3, v[10:11]
	v_mul_f64 v[16:17], v[19:20], s[0:1]
	v_mul_f64 v[3:4], v[3:4], s[0:1]
	v_mov_b32_e32 v2, v27
	v_mul_f64 v[5:6], v[5:6], s[0:1]
	v_mul_f64 v[18:19], v[21:22], s[0:1]
	;; [unrolled: 1-line block ×4, first 2 shown]
	v_lshlrev_b64 v[24:25], 3, v[1:2]
	v_add_co_u32 v2, vcc_lo, s4, v9
	v_add_co_ci_u32_e32 v10, vcc_lo, s5, v10, vcc_lo
	v_cvt_f32_f64_e32 v1, v[12:13]
	v_add_co_u32 v9, vcc_lo, v2, v24
	s_mul_i32 s0, s9, 0x7d0
	s_mul_hi_u32 s1, s8, 0x7d0
	v_add_co_ci_u32_e32 v10, vcc_lo, v10, v25, vcc_lo
	v_cvt_f32_f64_e32 v11, v[14:15]
	v_cvt_f32_f64_e32 v12, v[7:8]
	s_add_i32 s1, s1, s0
	s_mul_i32 s0, s8, 0x7d0
	v_cvt_f32_f64_e32 v2, v[16:17]
	v_cvt_f32_f64_e32 v3, v[3:4]
	;; [unrolled: 1-line block ×6, first 2 shown]
	v_add_co_u32 v13, vcc_lo, v9, s0
	v_add_co_ci_u32_e32 v14, vcc_lo, s1, v10, vcc_lo
	v_add_co_u32 v15, vcc_lo, v13, s0
	v_add_co_ci_u32_e32 v16, vcc_lo, s1, v14, vcc_lo
	;; [unrolled: 2-line block ×4, first 2 shown]
	global_store_dwordx2 v[9:10], v[0:1], off
	global_store_dwordx2 v[13:14], v[11:12], off
	;; [unrolled: 1-line block ×5, first 2 shown]
.LBB0_10:
	s_endpgm
	.section	.rodata,"a",@progbits
	.p2align	6, 0x0
	.amdhsa_kernel bluestein_single_back_len1250_dim1_sp_op_CI_CI
		.amdhsa_group_segment_fixed_size 10000
		.amdhsa_private_segment_fixed_size 0
		.amdhsa_kernarg_size 104
		.amdhsa_user_sgpr_count 6
		.amdhsa_user_sgpr_private_segment_buffer 1
		.amdhsa_user_sgpr_dispatch_ptr 0
		.amdhsa_user_sgpr_queue_ptr 0
		.amdhsa_user_sgpr_kernarg_segment_ptr 1
		.amdhsa_user_sgpr_dispatch_id 0
		.amdhsa_user_sgpr_flat_scratch_init 0
		.amdhsa_user_sgpr_private_segment_size 0
		.amdhsa_wavefront_size32 1
		.amdhsa_uses_dynamic_stack 0
		.amdhsa_system_sgpr_private_segment_wavefront_offset 0
		.amdhsa_system_sgpr_workgroup_id_x 1
		.amdhsa_system_sgpr_workgroup_id_y 0
		.amdhsa_system_sgpr_workgroup_id_z 0
		.amdhsa_system_sgpr_workgroup_info 0
		.amdhsa_system_vgpr_workitem_id 0
		.amdhsa_next_free_vgpr 95
		.amdhsa_next_free_sgpr 20
		.amdhsa_reserve_vcc 1
		.amdhsa_reserve_flat_scratch 0
		.amdhsa_float_round_mode_32 0
		.amdhsa_float_round_mode_16_64 0
		.amdhsa_float_denorm_mode_32 3
		.amdhsa_float_denorm_mode_16_64 3
		.amdhsa_dx10_clamp 1
		.amdhsa_ieee_mode 1
		.amdhsa_fp16_overflow 0
		.amdhsa_workgroup_processor_mode 1
		.amdhsa_memory_ordered 1
		.amdhsa_forward_progress 0
		.amdhsa_shared_vgpr_count 0
		.amdhsa_exception_fp_ieee_invalid_op 0
		.amdhsa_exception_fp_denorm_src 0
		.amdhsa_exception_fp_ieee_div_zero 0
		.amdhsa_exception_fp_ieee_overflow 0
		.amdhsa_exception_fp_ieee_underflow 0
		.amdhsa_exception_fp_ieee_inexact 0
		.amdhsa_exception_int_div_zero 0
	.end_amdhsa_kernel
	.text
.Lfunc_end0:
	.size	bluestein_single_back_len1250_dim1_sp_op_CI_CI, .Lfunc_end0-bluestein_single_back_len1250_dim1_sp_op_CI_CI
                                        ; -- End function
	.section	.AMDGPU.csdata,"",@progbits
; Kernel info:
; codeLenInByte = 7028
; NumSgprs: 22
; NumVgprs: 95
; ScratchSize: 0
; MemoryBound: 0
; FloatMode: 240
; IeeeMode: 1
; LDSByteSize: 10000 bytes/workgroup (compile time only)
; SGPRBlocks: 2
; VGPRBlocks: 11
; NumSGPRsForWavesPerEU: 22
; NumVGPRsForWavesPerEU: 95
; Occupancy: 10
; WaveLimiterHint : 1
; COMPUTE_PGM_RSRC2:SCRATCH_EN: 0
; COMPUTE_PGM_RSRC2:USER_SGPR: 6
; COMPUTE_PGM_RSRC2:TRAP_HANDLER: 0
; COMPUTE_PGM_RSRC2:TGID_X_EN: 1
; COMPUTE_PGM_RSRC2:TGID_Y_EN: 0
; COMPUTE_PGM_RSRC2:TGID_Z_EN: 0
; COMPUTE_PGM_RSRC2:TIDIG_COMP_CNT: 0
	.text
	.p2alignl 6, 3214868480
	.fill 48, 4, 3214868480
	.type	__hip_cuid_dcc9237a5d57a925,@object ; @__hip_cuid_dcc9237a5d57a925
	.section	.bss,"aw",@nobits
	.globl	__hip_cuid_dcc9237a5d57a925
__hip_cuid_dcc9237a5d57a925:
	.byte	0                               ; 0x0
	.size	__hip_cuid_dcc9237a5d57a925, 1

	.ident	"AMD clang version 19.0.0git (https://github.com/RadeonOpenCompute/llvm-project roc-6.4.0 25133 c7fe45cf4b819c5991fe208aaa96edf142730f1d)"
	.section	".note.GNU-stack","",@progbits
	.addrsig
	.addrsig_sym __hip_cuid_dcc9237a5d57a925
	.amdgpu_metadata
---
amdhsa.kernels:
  - .args:
      - .actual_access:  read_only
        .address_space:  global
        .offset:         0
        .size:           8
        .value_kind:     global_buffer
      - .actual_access:  read_only
        .address_space:  global
        .offset:         8
        .size:           8
        .value_kind:     global_buffer
      - .actual_access:  read_only
        .address_space:  global
        .offset:         16
        .size:           8
        .value_kind:     global_buffer
      - .actual_access:  read_only
        .address_space:  global
        .offset:         24
        .size:           8
        .value_kind:     global_buffer
      - .actual_access:  read_only
        .address_space:  global
        .offset:         32
        .size:           8
        .value_kind:     global_buffer
      - .offset:         40
        .size:           8
        .value_kind:     by_value
      - .address_space:  global
        .offset:         48
        .size:           8
        .value_kind:     global_buffer
      - .address_space:  global
        .offset:         56
        .size:           8
        .value_kind:     global_buffer
      - .address_space:  global
        .offset:         64
        .size:           8
        .value_kind:     global_buffer
      - .address_space:  global
        .offset:         72
        .size:           8
        .value_kind:     global_buffer
      - .offset:         80
        .size:           4
        .value_kind:     by_value
      - .address_space:  global
        .offset:         88
        .size:           8
        .value_kind:     global_buffer
      - .address_space:  global
        .offset:         96
        .size:           8
        .value_kind:     global_buffer
    .group_segment_fixed_size: 10000
    .kernarg_segment_align: 8
    .kernarg_segment_size: 104
    .language:       OpenCL C
    .language_version:
      - 2
      - 0
    .max_flat_workgroup_size: 250
    .name:           bluestein_single_back_len1250_dim1_sp_op_CI_CI
    .private_segment_fixed_size: 0
    .sgpr_count:     22
    .sgpr_spill_count: 0
    .symbol:         bluestein_single_back_len1250_dim1_sp_op_CI_CI.kd
    .uniform_work_group_size: 1
    .uses_dynamic_stack: false
    .vgpr_count:     95
    .vgpr_spill_count: 0
    .wavefront_size: 32
    .workgroup_processor_mode: 1
amdhsa.target:   amdgcn-amd-amdhsa--gfx1030
amdhsa.version:
  - 1
  - 2
...

	.end_amdgpu_metadata
